;; amdgpu-corpus repo=zjin-lcf/HeCBench kind=compiled arch=gfx1250 opt=O3
	.amdgcn_target "amdgcn-amd-amdhsa--gfx1250"
	.amdhsa_code_object_version 6
	.text
	.protected	_Z6solveriiiPKiS0_PKdPK13CustomComplexIdES6_S6_S6_S2_PdS7_ ; -- Begin function _Z6solveriiiPKiS0_PKdPK13CustomComplexIdES6_S6_S6_S2_PdS7_
	.globl	_Z6solveriiiPKiS0_PKdPK13CustomComplexIdES6_S6_S6_S2_PdS7_
	.p2align	8
	.type	_Z6solveriiiPKiS0_PKdPK13CustomComplexIdES6_S6_S6_S2_PdS7_,@function
_Z6solveriiiPKiS0_PKdPK13CustomComplexIdES6_S6_S6_S2_PdS7_: ; @_Z6solveriiiPKiS0_PKdPK13CustomComplexIdES6_S6_S6_S2_PdS7_
; %bb.0:
	s_clause 0x1
	s_load_b96 s[28:30], s[0:1], 0x0
	s_load_b128 s[20:23], s[0:1], 0x50
	s_bfe_u32 s2, ttmp6, 0x4000c
	s_and_b32 s3, ttmp6, 15
	s_add_co_i32 s2, s2, 1
	v_mov_b64_e32 v[12:13], 0
	s_mul_i32 s4, ttmp9, s2
	s_getreg_b32 s2, hwreg(HW_REG_IB_STS2, 6, 4)
	s_add_co_i32 s3, s3, s4
	v_mov_b64_e32 v[16:17], 0
	v_mov_b64_e32 v[20:21], 0
	;; [unrolled: 1-line block ×5, first 2 shown]
	s_cmp_eq_u32 s2, 0
	s_cselect_b32 s3, ttmp9, s3
	s_wait_kmcnt 0x0
	s_cmp_ge_i32 s3, s28
	s_cbranch_scc1 .LBB0_10
; %bb.1:
	s_bfe_u32 s12, ttmp6, 0x40010
	s_load_b256 s[4:11], s[0:1], 0x30
	s_add_co_i32 s24, s12, 1
	s_clause 0x1
	s_load_b256 s[12:19], s[0:1], 0x10
	s_load_b32 s31, s[0:1], 0x60
	s_mul_i32 s24, ttmp7, s24
	s_bfe_u32 s25, ttmp6, 0x40004
	v_mov_b64_e32 v[20:21], 0
	s_add_co_i32 s25, s25, s24
	s_cmp_eq_u32 s2, 0
	v_mov_b64_e32 v[16:17], 0
	v_mov_b64_e32 v[12:13], 0
	;; [unrolled: 1-line block ×5, first 2 shown]
	s_cselect_b32 s33, ttmp7, s25
	v_cmp_gt_i32_e64 s2, s30, v0
	s_cmp_lt_i32 s33, s29
	s_add_nc_u64 s[34:35], s[0:1], 0x60
	s_cselect_b32 s40, -1, 0
	s_mul_i32 s41, s33, s30
	s_branch .LBB0_3
.LBB0_2:                                ;   in Loop: Header=BB0_3 Depth=1
	s_wait_kmcnt 0x0
	s_add_co_i32 s3, s31, s3
	s_delay_alu instid0(SALU_CYCLE_1)
	s_cmp_ge_i32 s3, s28
	s_cbranch_scc1 .LBB0_10
.LBB0_3:                                ; =>This Loop Header: Depth=1
                                        ;     Child Loop BB0_6 Depth 2
                                        ;       Child Loop BB0_8 Depth 3
	s_and_not1_b32 vcc_lo, exec_lo, s40
	s_cbranch_vccnz .LBB0_2
; %bb.4:                                ;   in Loop: Header=BB0_3 Depth=1
	s_load_b32 s42, s[34:35], 0x4
	s_mul_i32 s43, s3, s30
	s_mov_b32 s44, s41
	s_mov_b32 s36, s33
	s_wait_kmcnt 0x0
	s_mul_i32 s45, s30, s42
	s_branch .LBB0_6
.LBB0_5:                                ;   in Loop: Header=BB0_6 Depth=2
	s_or_b32 exec_lo, exec_lo, s46
	s_add_co_i32 s36, s42, s36
	s_add_co_i32 s44, s44, s45
	s_cmp_ge_i32 s36, s29
	s_cbranch_scc1 .LBB0_2
.LBB0_6:                                ;   Parent Loop BB0_3 Depth=1
                                        ; =>  This Loop Header: Depth=2
                                        ;       Child Loop BB0_8 Depth 3
	s_and_saveexec_b32 s46, s2
	s_cbranch_execz .LBB0_5
; %bb.7:                                ;   in Loop: Header=BB0_6 Depth=2
	s_ashr_i32 s37, s36, 31
	v_mov_b32_e32 v1, v0
	s_lshl_b64 s[0:1], s[36:37], 2
	s_mov_b32 s37, 0
	s_add_nc_u64 s[0:1], s[12:13], s[0:1]
	s_load_b32 s0, s[0:1], 0x0
	s_wait_kmcnt 0x0
	s_ashr_i32 s1, s0, 31
	s_delay_alu instid0(SALU_CYCLE_1) | instskip(NEXT) | instid1(SALU_CYCLE_1)
	s_lshl_b64 s[0:1], s[0:1], 2
	s_add_nc_u64 s[0:1], s[14:15], s[0:1]
	s_load_b32 s0, s[0:1], 0x0
	s_wait_kmcnt 0x0
	s_add_co_i32 s24, s0, s43
	s_ashr_i32 s1, s0, 31
	s_ashr_i32 s25, s24, 31
	s_lshl_b64 s[0:1], s[0:1], 3
	s_lshl_b64 s[24:25], s[24:25], 4
	s_add_nc_u64 s[0:1], s[10:11], s[0:1]
	s_add_nc_u64 s[38:39], s[4:5], s[24:25]
	;; [unrolled: 1-line block ×3, first 2 shown]
	s_load_b128 s[24:27], s[38:39], 0x0
	s_load_b128 s[48:51], s[52:53], 0x0
	s_wait_kmcnt 0x0
	v_mul_f64_e64 v[2:3], s[26:27], s[50:51]
	v_mul_f64_e64 v[4:5], s[26:27], s[48:49]
	s_load_b64 s[0:1], s[0:1], 0x0
	s_delay_alu instid0(VALU_DEP_2) | instskip(NEXT) | instid1(VALU_DEP_2)
	v_fmac_f64_e64 v[2:3], s[24:25], s[48:49]
	v_fma_f64 v[4:5], s[24:25], s[50:51], -v[4:5]
	s_delay_alu instid0(VALU_DEP_2) | instskip(NEXT) | instid1(VALU_DEP_2)
	v_mul_f64_e32 v[2:3], 0.5, v[2:3]
	v_mul_f64_e32 v[4:5], 0.5, v[4:5]
	s_wait_kmcnt 0x0
	s_delay_alu instid0(VALU_DEP_2) | instskip(NEXT) | instid1(VALU_DEP_2)
	v_mul_f64_e32 v[22:23], s[0:1], v[2:3]
	v_mul_f64_e32 v[24:25], s[0:1], v[4:5]
	s_load_b32 s0, s[34:35], 0xc
	s_clause 0x1
	s_load_b128 s[24:27], s[16:17], 0x0
	s_load_b64 s[38:39], s[16:17], 0x10
	s_wait_kmcnt 0x0
	s_and_b32 s47, s0, 0xffff
.LBB0_8:                                ;   Parent Loop BB0_3 Depth=1
                                        ;     Parent Loop BB0_6 Depth=2
                                        ; =>    This Inner Loop Header: Depth=3
	v_add_nc_u32_e32 v26, s44, v1
	s_clause 0x1
	global_load_b128 v[6:9], v26, s[18:19] scale_offset
	global_load_b128 v[2:5], v26, s[8:9] scale_offset
	s_wait_loadcnt 0x1
	v_dual_add_f64 v[30:31], s[26:27], -v[6:7] :: v_dual_add_nc_u32 v1, s47, v1
	s_wait_xcnt 0x0
	v_add_f64_e64 v[26:27], -v[8:9], 0
	v_add_f64_e64 v[28:29], s[24:25], -v[6:7]
	v_add_f64_e64 v[32:33], s[38:39], -v[6:7]
	s_delay_alu instid0(VALU_DEP_3) | instskip(NEXT) | instid1(VALU_DEP_1)
	v_mul_f64_e32 v[34:35], v[26:27], v[26:27]
	v_fma_f64 v[36:37], v[28:29], v[28:29], v[34:35]
	v_fma_f64 v[38:39], v[30:31], v[30:31], v[34:35]
	s_delay_alu instid0(VALU_DEP_4) | instskip(NEXT) | instid1(VALU_DEP_3)
	v_fmac_f64_e32 v[34:35], v[32:33], v[32:33]
	v_div_scale_f64 v[40:41], null, v[36:37], v[36:37], 1.0
	s_delay_alu instid0(VALU_DEP_3) | instskip(NEXT) | instid1(VALU_DEP_3)
	v_div_scale_f64 v[44:45], null, v[38:39], v[38:39], 1.0
	v_div_scale_f64 v[48:49], null, v[34:35], v[34:35], 1.0
	v_div_scale_f64 v[42:43], vcc_lo, 1.0, v[36:37], 1.0
	v_div_scale_f64 v[46:47], s0, 1.0, v[38:39], 1.0
	v_div_scale_f64 v[50:51], s1, 1.0, v[34:35], 1.0
	v_rcp_f64_e32 v[52:53], v[40:41]
	v_rcp_f64_e32 v[54:55], v[44:45]
	s_delay_alu instid0(VALU_DEP_4) | instskip(NEXT) | instid1(TRANS32_DEP_3)
	v_rcp_f64_e32 v[56:57], v[48:49]
	v_fma_f64 v[58:59], -v[40:41], v[52:53], 1.0
	s_delay_alu instid0(VALU_DEP_1) | instskip(NEXT) | instid1(TRANS32_DEP_2)
	v_fmac_f64_e32 v[52:53], v[52:53], v[58:59]
	v_fma_f64 v[58:59], -v[44:45], v[54:55], 1.0
	s_delay_alu instid0(VALU_DEP_1) | instskip(NEXT) | instid1(TRANS32_DEP_1)
	v_fmac_f64_e32 v[54:55], v[54:55], v[58:59]
	v_fma_f64 v[58:59], -v[48:49], v[56:57], 1.0
	s_delay_alu instid0(VALU_DEP_1) | instskip(SKIP_1) | instid1(VALU_DEP_1)
	v_fmac_f64_e32 v[56:57], v[56:57], v[58:59]
	v_fma_f64 v[58:59], -v[40:41], v[52:53], 1.0
	v_fmac_f64_e32 v[52:53], v[52:53], v[58:59]
	v_fma_f64 v[58:59], -v[44:45], v[54:55], 1.0
	s_delay_alu instid0(VALU_DEP_1) | instskip(SKIP_1) | instid1(VALU_DEP_1)
	v_fmac_f64_e32 v[54:55], v[54:55], v[58:59]
	v_fma_f64 v[58:59], -v[48:49], v[56:57], 1.0
	v_fmac_f64_e32 v[56:57], v[56:57], v[58:59]
	v_mul_f64_e32 v[58:59], v[42:43], v[52:53]
	s_delay_alu instid0(VALU_DEP_1) | instskip(SKIP_1) | instid1(VALU_DEP_2)
	v_fma_f64 v[40:41], -v[40:41], v[58:59], v[42:43]
	v_mul_f64_e32 v[42:43], v[46:47], v[54:55]
	v_div_fmas_f64 v[40:41], v[40:41], v[52:53], v[58:59]
	s_delay_alu instid0(VALU_DEP_2) | instskip(SKIP_2) | instid1(VALU_DEP_2)
	v_fma_f64 v[44:45], -v[44:45], v[42:43], v[46:47]
	v_mul_f64_e32 v[46:47], v[50:51], v[56:57]
	s_mov_b32 vcc_lo, s0
	v_div_fmas_f64 v[42:43], v[44:45], v[54:55], v[42:43]
	s_delay_alu instid0(VALU_DEP_2) | instskip(SKIP_3) | instid1(VALU_DEP_3)
	v_fma_f64 v[48:49], -v[48:49], v[46:47], v[50:51]
	s_mov_b32 vcc_lo, s1
	v_mul_f64_e32 v[50:51], v[8:9], v[26:27]
	v_mul_f64_e32 v[26:27], v[6:7], v[26:27]
	v_div_fmas_f64 v[44:45], v[48:49], v[56:57], v[46:47]
	v_cmp_le_i32_e32 vcc_lo, s30, v1
	s_delay_alu instid0(VALU_DEP_4) | instskip(NEXT) | instid1(VALU_DEP_4)
	v_fma_f64 v[46:47], v[6:7], v[28:29], v[50:51]
	v_fma_f64 v[28:29], v[8:9], v[28:29], -v[26:27]
	v_fma_f64 v[48:49], v[6:7], v[30:31], v[50:51]
	v_fma_f64 v[30:31], v[8:9], v[30:31], -v[26:27]
	v_fmac_f64_e32 v[50:51], v[6:7], v[32:33]
	v_fma_f64 v[6:7], v[8:9], v[32:33], -v[26:27]
	v_div_fixup_f64 v[8:9], v[40:41], v[36:37], 1.0
	v_div_fixup_f64 v[26:27], v[42:43], v[38:39], 1.0
	s_or_b32 s37, vcc_lo, s37
	v_div_fixup_f64 v[32:33], v[44:45], v[34:35], 1.0
	s_delay_alu instid0(VALU_DEP_3) | instskip(SKIP_1) | instid1(VALU_DEP_4)
	v_mul_f64_e32 v[34:35], v[46:47], v[8:9]
	v_mul_f64_e32 v[8:9], v[28:29], v[8:9]
	;; [unrolled: 1-line block ×6, first 2 shown]
	s_wait_loadcnt 0x0
	v_mul_f64_e32 v[32:33], v[4:5], v[34:35]
	v_mul_f64_e32 v[36:37], v[4:5], v[8:9]
	;; [unrolled: 1-line block ×6, first 2 shown]
	v_fmac_f64_e32 v[32:33], v[2:3], v[8:9]
	v_fma_f64 v[8:9], v[2:3], v[34:35], -v[36:37]
	v_fmac_f64_e32 v[38:39], v[2:3], v[26:27]
	v_fma_f64 v[26:27], v[2:3], v[28:29], -v[40:41]
	;; [unrolled: 2-line block ×3, first 2 shown]
	v_mul_f64_e32 v[4:5], v[24:25], v[32:33]
	v_mul_f64_e32 v[6:7], v[24:25], v[8:9]
	;; [unrolled: 1-line block ×6, first 2 shown]
	v_fma_f64 v[4:5], v[22:23], v[8:9], -v[4:5]
	v_fmac_f64_e32 v[6:7], v[22:23], v[32:33]
	v_fma_f64 v[8:9], v[22:23], v[26:27], -v[28:29]
	v_fmac_f64_e32 v[30:31], v[22:23], v[38:39]
	;; [unrolled: 2-line block ×3, first 2 shown]
	v_add_f64_e32 v[20:21], v[20:21], v[4:5]
	v_add_f64_e32 v[18:19], v[18:19], v[6:7]
	;; [unrolled: 1-line block ×6, first 2 shown]
	s_and_not1_b32 exec_lo, exec_lo, s37
	s_cbranch_execnz .LBB0_8
; %bb.9:                                ;   in Loop: Header=BB0_6 Depth=2
	s_or_b32 exec_lo, exec_lo, s37
	s_branch .LBB0_5
.LBB0_10:
	v_mov_b64_e32 v[0:1], 0x8000000000000000
	s_mov_b32 s0, exec_lo
.LBB0_11:                               ; =>This Inner Loop Header: Depth=1
	s_delay_alu instid0(SALU_CYCLE_1) | instskip(NEXT) | instid1(SALU_CYCLE_1)
	s_ctz_i32_b32 s1, s0
	v_readlane_b32 s3, v21, s1
	v_readlane_b32 s2, v20, s1
	s_lshl_b32 s1, 1, s1
	s_delay_alu instid0(SALU_CYCLE_1)
	s_and_not1_b32 s0, s0, s1
	v_add_f64_e32 v[0:1], s[2:3], v[0:1]
	s_cmp_lg_u32 s0, 0
	s_cbranch_scc1 .LBB0_11
; %bb.12:
	v_mbcnt_lo_u32_b32 v2, exec_lo, 0
	s_mov_b32 s0, exec_lo
	s_delay_alu instid0(VALU_DEP_1)
	v_cmpx_eq_u32_e32 0, v2
	s_xor_b32 s0, exec_lo, s0
	s_cbranch_execz .LBB0_14
; %bb.13:
	v_mov_b32_e32 v2, 0
	global_atomic_add_f64 v2, v[0:1], s[20:21] scope:SCOPE_DEV
.LBB0_14:
	s_wait_xcnt 0x0
	s_or_b32 exec_lo, exec_lo, s0
	v_mov_b64_e32 v[0:1], 0x8000000000000000
	s_mov_b32 s0, exec_lo
.LBB0_15:                               ; =>This Inner Loop Header: Depth=1
	s_delay_alu instid0(SALU_CYCLE_1) | instskip(NEXT) | instid1(SALU_CYCLE_1)
	s_ctz_i32_b32 s1, s0
	v_readlane_b32 s3, v19, s1
	v_readlane_b32 s2, v18, s1
	s_lshl_b32 s1, 1, s1
	s_delay_alu instid0(SALU_CYCLE_1)
	s_and_not1_b32 s0, s0, s1
	v_add_f64_e32 v[0:1], s[2:3], v[0:1]
	s_cmp_lg_u32 s0, 0
	s_cbranch_scc1 .LBB0_15
; %bb.16:
	v_mbcnt_lo_u32_b32 v2, exec_lo, 0
	s_mov_b32 s0, exec_lo
	s_delay_alu instid0(VALU_DEP_1)
	v_cmpx_eq_u32_e32 0, v2
	s_xor_b32 s0, exec_lo, s0
	s_cbranch_execz .LBB0_18
; %bb.17:
	v_mov_b32_e32 v2, 0
	global_atomic_add_f64 v2, v[0:1], s[22:23] scope:SCOPE_DEV
.LBB0_18:
	s_wait_xcnt 0x0
	s_or_b32 exec_lo, exec_lo, s0
	v_mov_b64_e32 v[0:1], 0x8000000000000000
	s_mov_b32 s0, exec_lo
.LBB0_19:                               ; =>This Inner Loop Header: Depth=1
	s_delay_alu instid0(SALU_CYCLE_1) | instskip(NEXT) | instid1(SALU_CYCLE_1)
	s_ctz_i32_b32 s1, s0
	v_readlane_b32 s3, v17, s1
	v_readlane_b32 s2, v16, s1
	s_lshl_b32 s1, 1, s1
	s_delay_alu instid0(SALU_CYCLE_1)
	s_and_not1_b32 s0, s0, s1
	v_add_f64_e32 v[0:1], s[2:3], v[0:1]
	s_cmp_lg_u32 s0, 0
	s_cbranch_scc1 .LBB0_19
; %bb.20:
	v_mbcnt_lo_u32_b32 v2, exec_lo, 0
	s_mov_b32 s0, exec_lo
	s_delay_alu instid0(VALU_DEP_1)
	v_cmpx_eq_u32_e32 0, v2
	s_xor_b32 s0, exec_lo, s0
	s_cbranch_execz .LBB0_22
; %bb.21:
	v_mov_b32_e32 v2, 0
	global_atomic_add_f64 v2, v[0:1], s[20:21] offset:8 scope:SCOPE_DEV
.LBB0_22:
	s_wait_xcnt 0x0
	s_or_b32 exec_lo, exec_lo, s0
	v_mov_b64_e32 v[0:1], 0x8000000000000000
	s_mov_b32 s0, exec_lo
.LBB0_23:                               ; =>This Inner Loop Header: Depth=1
	s_delay_alu instid0(SALU_CYCLE_1) | instskip(NEXT) | instid1(SALU_CYCLE_1)
	s_ctz_i32_b32 s1, s0
	v_readlane_b32 s3, v15, s1
	v_readlane_b32 s2, v14, s1
	s_lshl_b32 s1, 1, s1
	s_delay_alu instid0(SALU_CYCLE_1)
	s_and_not1_b32 s0, s0, s1
	v_add_f64_e32 v[0:1], s[2:3], v[0:1]
	s_cmp_lg_u32 s0, 0
	s_cbranch_scc1 .LBB0_23
; %bb.24:
	v_mbcnt_lo_u32_b32 v2, exec_lo, 0
	s_mov_b32 s0, exec_lo
	s_delay_alu instid0(VALU_DEP_1)
	v_cmpx_eq_u32_e32 0, v2
	s_xor_b32 s0, exec_lo, s0
	s_cbranch_execz .LBB0_26
; %bb.25:
	v_mov_b32_e32 v2, 0
	global_atomic_add_f64 v2, v[0:1], s[22:23] offset:8 scope:SCOPE_DEV
.LBB0_26:
	s_wait_xcnt 0x0
	s_or_b32 exec_lo, exec_lo, s0
	v_mov_b64_e32 v[0:1], 0x8000000000000000
	s_mov_b32 s0, exec_lo
.LBB0_27:                               ; =>This Inner Loop Header: Depth=1
	s_delay_alu instid0(SALU_CYCLE_1) | instskip(NEXT) | instid1(SALU_CYCLE_1)
	s_ctz_i32_b32 s1, s0
	v_readlane_b32 s3, v13, s1
	v_readlane_b32 s2, v12, s1
	s_lshl_b32 s1, 1, s1
	s_delay_alu instid0(SALU_CYCLE_1)
	s_and_not1_b32 s0, s0, s1
	v_add_f64_e32 v[0:1], s[2:3], v[0:1]
	s_cmp_lg_u32 s0, 0
	s_cbranch_scc1 .LBB0_27
; %bb.28:
	v_mbcnt_lo_u32_b32 v2, exec_lo, 0
	s_mov_b32 s0, exec_lo
	s_delay_alu instid0(VALU_DEP_1)
	v_cmpx_eq_u32_e32 0, v2
	s_xor_b32 s0, exec_lo, s0
	s_cbranch_execz .LBB0_30
; %bb.29:
	v_mov_b32_e32 v2, 0
	global_atomic_add_f64 v2, v[0:1], s[20:21] offset:16 scope:SCOPE_DEV
.LBB0_30:
	s_wait_xcnt 0x0
	s_or_b32 exec_lo, exec_lo, s0
	v_mov_b64_e32 v[0:1], 0x8000000000000000
	s_mov_b32 s0, exec_lo
.LBB0_31:                               ; =>This Inner Loop Header: Depth=1
	s_delay_alu instid0(SALU_CYCLE_1) | instskip(NEXT) | instid1(SALU_CYCLE_1)
	s_ctz_i32_b32 s1, s0
	v_readlane_b32 s3, v11, s1
	v_readlane_b32 s2, v10, s1
	s_lshl_b32 s1, 1, s1
	s_delay_alu instid0(SALU_CYCLE_1)
	s_and_not1_b32 s0, s0, s1
	v_add_f64_e32 v[0:1], s[2:3], v[0:1]
	s_cmp_lg_u32 s0, 0
	s_cbranch_scc1 .LBB0_31
; %bb.32:
	v_mbcnt_lo_u32_b32 v2, exec_lo, 0
	s_mov_b32 s0, exec_lo
	s_delay_alu instid0(VALU_DEP_1)
	v_cmpx_eq_u32_e32 0, v2
	s_xor_b32 s0, exec_lo, s0
	s_cbranch_execz .LBB0_34
; %bb.33:
	v_mov_b32_e32 v2, 0
	global_atomic_add_f64 v2, v[0:1], s[22:23] offset:16 scope:SCOPE_DEV
.LBB0_34:
	s_endpgm
	.section	.rodata,"a",@progbits
	.p2align	6, 0x0
	.amdhsa_kernel _Z6solveriiiPKiS0_PKdPK13CustomComplexIdES6_S6_S6_S2_PdS7_
		.amdhsa_group_segment_fixed_size 0
		.amdhsa_private_segment_fixed_size 0
		.amdhsa_kernarg_size 352
		.amdhsa_user_sgpr_count 2
		.amdhsa_user_sgpr_dispatch_ptr 0
		.amdhsa_user_sgpr_queue_ptr 0
		.amdhsa_user_sgpr_kernarg_segment_ptr 1
		.amdhsa_user_sgpr_dispatch_id 0
		.amdhsa_user_sgpr_kernarg_preload_length 0
		.amdhsa_user_sgpr_kernarg_preload_offset 0
		.amdhsa_user_sgpr_private_segment_size 0
		.amdhsa_wavefront_size32 1
		.amdhsa_uses_dynamic_stack 0
		.amdhsa_enable_private_segment 0
		.amdhsa_system_sgpr_workgroup_id_x 1
		.amdhsa_system_sgpr_workgroup_id_y 1
		.amdhsa_system_sgpr_workgroup_id_z 0
		.amdhsa_system_sgpr_workgroup_info 0
		.amdhsa_system_vgpr_workitem_id 0
		.amdhsa_next_free_vgpr 60
		.amdhsa_next_free_sgpr 54
		.amdhsa_named_barrier_count 0
		.amdhsa_reserve_vcc 1
		.amdhsa_float_round_mode_32 0
		.amdhsa_float_round_mode_16_64 0
		.amdhsa_float_denorm_mode_32 3
		.amdhsa_float_denorm_mode_16_64 3
		.amdhsa_fp16_overflow 0
		.amdhsa_memory_ordered 1
		.amdhsa_forward_progress 1
		.amdhsa_inst_pref_size 15
		.amdhsa_round_robin_scheduling 0
		.amdhsa_exception_fp_ieee_invalid_op 0
		.amdhsa_exception_fp_denorm_src 0
		.amdhsa_exception_fp_ieee_div_zero 0
		.amdhsa_exception_fp_ieee_overflow 0
		.amdhsa_exception_fp_ieee_underflow 0
		.amdhsa_exception_fp_ieee_inexact 0
		.amdhsa_exception_int_div_zero 0
	.end_amdhsa_kernel
	.text
.Lfunc_end0:
	.size	_Z6solveriiiPKiS0_PKdPK13CustomComplexIdES6_S6_S6_S2_PdS7_, .Lfunc_end0-_Z6solveriiiPKiS0_PKdPK13CustomComplexIdES6_S6_S6_S2_PdS7_
                                        ; -- End function
	.set _Z6solveriiiPKiS0_PKdPK13CustomComplexIdES6_S6_S6_S2_PdS7_.num_vgpr, 60
	.set _Z6solveriiiPKiS0_PKdPK13CustomComplexIdES6_S6_S6_S2_PdS7_.num_agpr, 0
	.set _Z6solveriiiPKiS0_PKdPK13CustomComplexIdES6_S6_S6_S2_PdS7_.numbered_sgpr, 54
	.set _Z6solveriiiPKiS0_PKdPK13CustomComplexIdES6_S6_S6_S2_PdS7_.num_named_barrier, 0
	.set _Z6solveriiiPKiS0_PKdPK13CustomComplexIdES6_S6_S6_S2_PdS7_.private_seg_size, 0
	.set _Z6solveriiiPKiS0_PKdPK13CustomComplexIdES6_S6_S6_S2_PdS7_.uses_vcc, 1
	.set _Z6solveriiiPKiS0_PKdPK13CustomComplexIdES6_S6_S6_S2_PdS7_.uses_flat_scratch, 0
	.set _Z6solveriiiPKiS0_PKdPK13CustomComplexIdES6_S6_S6_S2_PdS7_.has_dyn_sized_stack, 0
	.set _Z6solveriiiPKiS0_PKdPK13CustomComplexIdES6_S6_S6_S2_PdS7_.has_recursion, 0
	.set _Z6solveriiiPKiS0_PKdPK13CustomComplexIdES6_S6_S6_S2_PdS7_.has_indirect_call, 0
	.section	.AMDGPU.csdata,"",@progbits
; Kernel info:
; codeLenInByte = 1840
; TotalNumSgprs: 56
; NumVgprs: 60
; ScratchSize: 0
; MemoryBound: 0
; FloatMode: 240
; IeeeMode: 1
; LDSByteSize: 0 bytes/workgroup (compile time only)
; SGPRBlocks: 0
; VGPRBlocks: 3
; NumSGPRsForWavesPerEU: 56
; NumVGPRsForWavesPerEU: 60
; NamedBarCnt: 0
; Occupancy: 16
; WaveLimiterHint : 1
; COMPUTE_PGM_RSRC2:SCRATCH_EN: 0
; COMPUTE_PGM_RSRC2:USER_SGPR: 2
; COMPUTE_PGM_RSRC2:TRAP_HANDLER: 0
; COMPUTE_PGM_RSRC2:TGID_X_EN: 1
; COMPUTE_PGM_RSRC2:TGID_Y_EN: 1
; COMPUTE_PGM_RSRC2:TGID_Z_EN: 0
; COMPUTE_PGM_RSRC2:TIDIG_COMP_CNT: 0
	.text
	.p2alignl 7, 3214868480
	.fill 96, 4, 3214868480
	.section	.AMDGPU.gpr_maximums,"",@progbits
	.set amdgpu.max_num_vgpr, 0
	.set amdgpu.max_num_agpr, 0
	.set amdgpu.max_num_sgpr, 0
	.text
	.type	__hip_cuid_d50d0f18226dd276,@object ; @__hip_cuid_d50d0f18226dd276
	.section	.bss,"aw",@nobits
	.globl	__hip_cuid_d50d0f18226dd276
__hip_cuid_d50d0f18226dd276:
	.byte	0                               ; 0x0
	.size	__hip_cuid_d50d0f18226dd276, 1

	.ident	"AMD clang version 22.0.0git (https://github.com/RadeonOpenCompute/llvm-project roc-7.2.4 26084 f58b06dce1f9c15707c5f808fd002e18c2accf7e)"
	.section	".note.GNU-stack","",@progbits
	.addrsig
	.addrsig_sym __hip_cuid_d50d0f18226dd276
	.amdgpu_metadata
---
amdhsa.kernels:
  - .args:
      - .offset:         0
        .size:           4
        .value_kind:     by_value
      - .offset:         4
        .size:           4
        .value_kind:     by_value
      - .offset:         8
        .size:           4
        .value_kind:     by_value
      - .actual_access:  read_only
        .address_space:  global
        .offset:         16
        .size:           8
        .value_kind:     global_buffer
      - .actual_access:  read_only
        .address_space:  global
        .offset:         24
        .size:           8
        .value_kind:     global_buffer
      - .actual_access:  read_only
        .address_space:  global
        .offset:         32
        .size:           8
        .value_kind:     global_buffer
      - .actual_access:  read_only
        .address_space:  global
        .offset:         40
        .size:           8
        .value_kind:     global_buffer
      - .actual_access:  read_only
        .address_space:  global
        .offset:         48
        .size:           8
        .value_kind:     global_buffer
      - .actual_access:  read_only
        .address_space:  global
        .offset:         56
        .size:           8
        .value_kind:     global_buffer
      - .actual_access:  read_only
        .address_space:  global
        .offset:         64
        .size:           8
        .value_kind:     global_buffer
      - .actual_access:  read_only
        .address_space:  global
        .offset:         72
        .size:           8
        .value_kind:     global_buffer
      - .address_space:  global
        .offset:         80
        .size:           8
        .value_kind:     global_buffer
      - .address_space:  global
        .offset:         88
        .size:           8
        .value_kind:     global_buffer
      - .offset:         96
        .size:           4
        .value_kind:     hidden_block_count_x
      - .offset:         100
        .size:           4
        .value_kind:     hidden_block_count_y
      - .offset:         104
        .size:           4
        .value_kind:     hidden_block_count_z
      - .offset:         108
        .size:           2
        .value_kind:     hidden_group_size_x
      - .offset:         110
        .size:           2
        .value_kind:     hidden_group_size_y
      - .offset:         112
        .size:           2
        .value_kind:     hidden_group_size_z
      - .offset:         114
        .size:           2
        .value_kind:     hidden_remainder_x
      - .offset:         116
        .size:           2
        .value_kind:     hidden_remainder_y
      - .offset:         118
        .size:           2
        .value_kind:     hidden_remainder_z
      - .offset:         136
        .size:           8
        .value_kind:     hidden_global_offset_x
      - .offset:         144
        .size:           8
        .value_kind:     hidden_global_offset_y
      - .offset:         152
        .size:           8
        .value_kind:     hidden_global_offset_z
      - .offset:         160
        .size:           2
        .value_kind:     hidden_grid_dims
    .group_segment_fixed_size: 0
    .kernarg_segment_align: 8
    .kernarg_segment_size: 352
    .language:       OpenCL C
    .language_version:
      - 2
      - 0
    .max_flat_workgroup_size: 1024
    .name:           _Z6solveriiiPKiS0_PKdPK13CustomComplexIdES6_S6_S6_S2_PdS7_
    .private_segment_fixed_size: 0
    .sgpr_count:     56
    .sgpr_spill_count: 0
    .symbol:         _Z6solveriiiPKiS0_PKdPK13CustomComplexIdES6_S6_S6_S2_PdS7_.kd
    .uniform_work_group_size: 1
    .uses_dynamic_stack: false
    .vgpr_count:     60
    .vgpr_spill_count: 0
    .wavefront_size: 32
amdhsa.target:   amdgcn-amd-amdhsa--gfx1250
amdhsa.version:
  - 1
  - 2
...

	.end_amdgpu_metadata
